;; amdgpu-corpus repo=ROCm/vllm kind=compiled arch=gfx90a opt=O3
	.text
	.amdgcn_target "amdgcn-amd-amdhsa--gfx90a"
	.amdhsa_code_object_version 6
	.protected	_Z19permute_cols_kernelPK15HIP_vector_typeIiLj4EEPKiPS0_iii ; -- Begin function _Z19permute_cols_kernelPK15HIP_vector_typeIiLj4EEPKiPS0_iii
	.globl	_Z19permute_cols_kernelPK15HIP_vector_typeIiLj4EEPKiPS0_iii
	.p2align	8
	.type	_Z19permute_cols_kernelPK15HIP_vector_typeIiLj4EEPKiPS0_iii,@function
_Z19permute_cols_kernelPK15HIP_vector_typeIiLj4EEPKiPS0_iii: ; @_Z19permute_cols_kernelPK15HIP_vector_typeIiLj4EEPKiPS0_iii
; %bb.0:
	s_load_dwordx4 s[8:11], s[4:5], 0x18
	s_waitcnt lgkmcnt(0)
	s_mul_i32 s20, s6, s10
	s_add_i32 s0, s20, s10
	s_min_i32 s0, s0, s8
	s_sub_i32 s21, s0, s20
	s_cmp_lt_i32 s21, 1
	s_cbranch_scc1 .LBB0_17
; %bb.1:
	s_ashr_i32 s0, s9, 31
	s_lshr_b32 s0, s0, 24
	s_add_i32 s0, s9, s0
	s_ashr_i32 s23, s0, 8
	s_and_b32 s0, s0, 0xffffff00
	s_ashr_i32 s22, s9, 3
	s_sub_i32 s0, s9, s0
	s_cmpk_gt_i32 s9, 0xff
	s_cselect_b64 s[2:3], -1, 0
	s_add_i32 s9, s23, -1
	s_cmp_gt_u32 s23, 13
	s_cselect_b64 s[10:11], -1, 0
	s_cmp_gt_u32 s9, 0xffffff
	v_lshl_add_u32 v1, s9, 8, v0
	s_load_dwordx4 s[12:15], s[4:5], 0x0
	s_load_dwordx2 s[6:7], s[4:5], 0x10
	s_cselect_b64 s[4:5], -1, 0
	v_cmp_lt_i32_e32 vcc, v1, v0
	s_or_b64 s[4:5], vcc, s[4:5]
	s_and_b32 s9, s23, 0x7ffffe
	s_xor_b64 s[16:17], s[4:5], -1
	s_lshl_b32 s24, s9, 8
	s_cmp_lg_u32 s23, s9
	v_cndmask_b32_e64 v2, 0, 1, s[2:3]
	v_cmp_gt_u32_e64 s[0:1], s0, v0
	v_mov_b32_e32 v1, v0
	s_cselect_b64 s[4:5], -1, 0
	s_and_b64 s[10:11], s[10:11], s[16:17]
	s_mov_b32 s25, 0
	v_cmp_ne_u32_e64 s[2:3], 1, v2
	s_branch .LBB0_4
.LBB0_2:                                ;   in Loop: Header=BB0_4 Depth=1
	s_or_b64 exec, exec, s[16:17]
.LBB0_3:                                ;   in Loop: Header=BB0_4 Depth=1
	s_add_i32 s25, s25, 1
	s_cmp_le_i32 s21, s25
	s_cbranch_scc1 .LBB0_17
.LBB0_4:                                ; =>This Loop Header: Depth=1
                                        ;     Child Loop BB0_8 Depth 2
                                        ;     Child Loop BB0_12 Depth 2
	s_add_i32 s16, s25, s20
	s_cmp_ge_i32 s16, s8
	s_cbranch_scc1 .LBB0_3
; %bb.5:                                ;   in Loop: Header=BB0_4 Depth=1
	s_mul_i32 s16, s16, s22
	s_ashr_i32 s17, s16, 31
	s_lshl_b64 s[16:17], s[16:17], 4
	s_waitcnt lgkmcnt(0)
	s_add_u32 s28, s12, s16
	s_addc_u32 s29, s13, s17
	s_add_u32 s26, s6, s16
	s_addc_u32 s27, s7, s17
	s_and_b64 vcc, exec, s[2:3]
	v_mov_b32_e32 v4, 0
	s_cbranch_vccnz .LBB0_15
; %bb.6:                                ;   in Loop: Header=BB0_4 Depth=1
	s_mov_b64 s[18:19], -1
	s_mov_b32 s30, 0
	v_mov_b32_e32 v3, 0
	v_mov_b32_e32 v2, 0
	s_and_saveexec_b64 s[16:17], s[10:11]
	s_cbranch_execz .LBB0_10
; %bb.7:                                ;   in Loop: Header=BB0_4 Depth=1
	s_movk_i32 s18, 0x100
	s_mov_b32 s19, s9
.LBB0_8:                                ;   Parent Loop BB0_4 Depth=1
                                        ; =>  This Inner Loop Header: Depth=2
	v_add_u32_e32 v2, s30, v0
	v_ashrrev_i32_e32 v3, 31, v2
	v_add_u32_e32 v4, s18, v1
	v_lshlrev_b64 v[6:7], 2, v[2:3]
	v_mov_b32_e32 v10, s15
	v_ashrrev_i32_e32 v5, 31, v4
	v_add_co_u32_e32 v6, vcc, s14, v6
	v_lshlrev_b64 v[8:9], 2, v[4:5]
	v_addc_co_u32_e32 v7, vcc, v10, v7, vcc
	v_add_co_u32_e32 v8, vcc, s14, v8
	v_addc_co_u32_e32 v9, vcc, v10, v9, vcc
	global_load_dword v10, v[8:9], off
	global_load_dword v12, v[6:7], off
	v_mov_b32_e32 v14, s29
	v_mov_b32_e32 v15, s29
	v_lshlrev_b64 v[2:3], 1, v[2:3]
	s_addk_i32 s30, 0x200
	s_addk_i32 s18, 0x200
	s_add_i32 s19, s19, -2
	v_lshlrev_b64 v[4:5], 1, v[4:5]
	s_cmp_lg_u32 s19, 0
	s_waitcnt vmcnt(1)
	v_ashrrev_i32_e32 v11, 31, v10
	s_waitcnt vmcnt(0)
	v_ashrrev_i32_e32 v13, 31, v12
	v_lshlrev_b64 v[6:7], 1, v[12:13]
	v_add_co_u32_e32 v6, vcc, s28, v6
	v_lshlrev_b64 v[8:9], 1, v[10:11]
	v_addc_co_u32_e32 v7, vcc, v14, v7, vcc
	v_add_co_u32_e32 v8, vcc, s28, v8
	v_addc_co_u32_e32 v9, vcc, v15, v9, vcc
	global_load_ushort v10, v[6:7], off
	global_load_ushort v11, v[8:9], off
	v_mov_b32_e32 v6, s27
	v_add_co_u32_e32 v2, vcc, s26, v2
	v_addc_co_u32_e32 v3, vcc, v6, v3, vcc
	v_mov_b32_e32 v7, s27
	v_add_co_u32_e32 v4, vcc, s26, v4
	v_addc_co_u32_e32 v5, vcc, v7, v5, vcc
	s_waitcnt vmcnt(1)
	global_store_short v[2:3], v10, off
	s_waitcnt vmcnt(1)
	global_store_short v[4:5], v11, off
	s_cbranch_scc1 .LBB0_8
; %bb.9:                                ;   in Loop: Header=BB0_4 Depth=1
	v_mov_b32_e32 v3, s9
	v_mov_b32_e32 v2, s24
	s_orn2_b64 s[18:19], s[4:5], exec
.LBB0_10:                               ;   in Loop: Header=BB0_4 Depth=1
	s_or_b64 exec, exec, s[16:17]
	v_mov_b32_e32 v4, s24
	s_and_saveexec_b64 s[16:17], s[18:19]
	s_cbranch_execz .LBB0_14
; %bb.11:                               ;   in Loop: Header=BB0_4 Depth=1
	v_sub_u32_e32 v3, s23, v3
	s_mov_b64 s[18:19], 0
.LBB0_12:                               ;   Parent Loop BB0_4 Depth=1
                                        ; =>  This Inner Loop Header: Depth=2
	v_add_u32_e32 v4, v0, v2
	v_ashrrev_i32_e32 v5, 31, v4
	v_lshlrev_b64 v[6:7], 2, v[4:5]
	v_mov_b32_e32 v8, s15
	v_add_co_u32_e32 v6, vcc, s14, v6
	v_addc_co_u32_e32 v7, vcc, v8, v7, vcc
	global_load_dword v6, v[6:7], off
	v_mov_b32_e32 v8, s29
	v_add_u32_e32 v3, -1, v3
	v_lshlrev_b64 v[4:5], 1, v[4:5]
	v_add_u32_e32 v2, 0x100, v2
	s_waitcnt vmcnt(0)
	v_ashrrev_i32_e32 v7, 31, v6
	v_lshlrev_b64 v[6:7], 1, v[6:7]
	v_add_co_u32_e32 v6, vcc, s28, v6
	v_addc_co_u32_e32 v7, vcc, v8, v7, vcc
	global_load_ushort v6, v[6:7], off
	v_cmp_eq_u32_e32 vcc, 0, v3
	v_mov_b32_e32 v7, s27
	s_or_b64 s[18:19], vcc, s[18:19]
	v_add_co_u32_e32 v4, vcc, s26, v4
	v_addc_co_u32_e32 v5, vcc, v7, v5, vcc
	s_waitcnt vmcnt(0)
	global_store_short v[4:5], v6, off
	s_andn2_b64 exec, exec, s[18:19]
	s_cbranch_execnz .LBB0_12
; %bb.13:                               ;   in Loop: Header=BB0_4 Depth=1
	s_or_b64 exec, exec, s[18:19]
	v_mov_b32_e32 v4, v2
.LBB0_14:                               ;   in Loop: Header=BB0_4 Depth=1
	s_or_b64 exec, exec, s[16:17]
.LBB0_15:                               ;   in Loop: Header=BB0_4 Depth=1
	s_and_saveexec_b64 s[16:17], s[0:1]
	s_cbranch_execz .LBB0_2
; %bb.16:                               ;   in Loop: Header=BB0_4 Depth=1
	v_add_u32_e32 v2, v4, v0
	v_ashrrev_i32_e32 v3, 31, v2
	v_lshlrev_b64 v[4:5], 2, v[2:3]
	v_mov_b32_e32 v6, s15
	v_add_co_u32_e32 v4, vcc, s14, v4
	v_addc_co_u32_e32 v5, vcc, v6, v5, vcc
	global_load_dword v4, v[4:5], off
	v_mov_b32_e32 v6, s29
	v_lshlrev_b64 v[2:3], 1, v[2:3]
	s_waitcnt vmcnt(0)
	v_ashrrev_i32_e32 v5, 31, v4
	v_lshlrev_b64 v[4:5], 1, v[4:5]
	v_add_co_u32_e32 v4, vcc, s28, v4
	v_addc_co_u32_e32 v5, vcc, v6, v5, vcc
	global_load_ushort v4, v[4:5], off
	v_mov_b32_e32 v5, s27
	v_add_co_u32_e32 v2, vcc, s26, v2
	v_addc_co_u32_e32 v3, vcc, v5, v3, vcc
	s_waitcnt vmcnt(0)
	global_store_short v[2:3], v4, off
	s_branch .LBB0_2
.LBB0_17:
	s_endpgm
	.section	.rodata,"a",@progbits
	.p2align	6, 0x0
	.amdhsa_kernel _Z19permute_cols_kernelPK15HIP_vector_typeIiLj4EEPKiPS0_iii
		.amdhsa_group_segment_fixed_size 0
		.amdhsa_private_segment_fixed_size 0
		.amdhsa_kernarg_size 36
		.amdhsa_user_sgpr_count 6
		.amdhsa_user_sgpr_private_segment_buffer 1
		.amdhsa_user_sgpr_dispatch_ptr 0
		.amdhsa_user_sgpr_queue_ptr 0
		.amdhsa_user_sgpr_kernarg_segment_ptr 1
		.amdhsa_user_sgpr_dispatch_id 0
		.amdhsa_user_sgpr_flat_scratch_init 0
		.amdhsa_user_sgpr_kernarg_preload_length 0
		.amdhsa_user_sgpr_kernarg_preload_offset 0
		.amdhsa_user_sgpr_private_segment_size 0
		.amdhsa_uses_dynamic_stack 0
		.amdhsa_system_sgpr_private_segment_wavefront_offset 0
		.amdhsa_system_sgpr_workgroup_id_x 1
		.amdhsa_system_sgpr_workgroup_id_y 0
		.amdhsa_system_sgpr_workgroup_id_z 0
		.amdhsa_system_sgpr_workgroup_info 0
		.amdhsa_system_vgpr_workitem_id 0
		.amdhsa_next_free_vgpr 16
		.amdhsa_next_free_sgpr 31
		.amdhsa_accum_offset 16
		.amdhsa_reserve_vcc 1
		.amdhsa_reserve_flat_scratch 0
		.amdhsa_float_round_mode_32 0
		.amdhsa_float_round_mode_16_64 0
		.amdhsa_float_denorm_mode_32 3
		.amdhsa_float_denorm_mode_16_64 3
		.amdhsa_dx10_clamp 1
		.amdhsa_ieee_mode 1
		.amdhsa_fp16_overflow 0
		.amdhsa_tg_split 0
		.amdhsa_exception_fp_ieee_invalid_op 0
		.amdhsa_exception_fp_denorm_src 0
		.amdhsa_exception_fp_ieee_div_zero 0
		.amdhsa_exception_fp_ieee_overflow 0
		.amdhsa_exception_fp_ieee_underflow 0
		.amdhsa_exception_fp_ieee_inexact 0
		.amdhsa_exception_int_div_zero 0
	.end_amdhsa_kernel
	.text
.Lfunc_end0:
	.size	_Z19permute_cols_kernelPK15HIP_vector_typeIiLj4EEPKiPS0_iii, .Lfunc_end0-_Z19permute_cols_kernelPK15HIP_vector_typeIiLj4EEPKiPS0_iii
                                        ; -- End function
	.section	.AMDGPU.csdata,"",@progbits
; Kernel info:
; codeLenInByte = 824
; NumSgprs: 35
; NumVgprs: 16
; NumAgprs: 0
; TotalNumVgprs: 16
; ScratchSize: 0
; MemoryBound: 0
; FloatMode: 240
; IeeeMode: 1
; LDSByteSize: 0 bytes/workgroup (compile time only)
; SGPRBlocks: 4
; VGPRBlocks: 1
; NumSGPRsForWavesPerEU: 35
; NumVGPRsForWavesPerEU: 16
; AccumOffset: 16
; Occupancy: 8
; WaveLimiterHint : 1
; COMPUTE_PGM_RSRC2:SCRATCH_EN: 0
; COMPUTE_PGM_RSRC2:USER_SGPR: 6
; COMPUTE_PGM_RSRC2:TRAP_HANDLER: 0
; COMPUTE_PGM_RSRC2:TGID_X_EN: 1
; COMPUTE_PGM_RSRC2:TGID_Y_EN: 0
; COMPUTE_PGM_RSRC2:TGID_Z_EN: 0
; COMPUTE_PGM_RSRC2:TIDIG_COMP_CNT: 0
; COMPUTE_PGM_RSRC3_GFX90A:ACCUM_OFFSET: 3
; COMPUTE_PGM_RSRC3_GFX90A:TG_SPLIT: 0
	.text
	.p2alignl 6, 3212836864
	.fill 256, 4, 3212836864
	.type	__hip_cuid_316448d4b7e2b5e2,@object ; @__hip_cuid_316448d4b7e2b5e2
	.section	.bss,"aw",@nobits
	.globl	__hip_cuid_316448d4b7e2b5e2
__hip_cuid_316448d4b7e2b5e2:
	.byte	0                               ; 0x0
	.size	__hip_cuid_316448d4b7e2b5e2, 1

	.ident	"AMD clang version 19.0.0git (https://github.com/RadeonOpenCompute/llvm-project roc-6.4.0 25133 c7fe45cf4b819c5991fe208aaa96edf142730f1d)"
	.section	".note.GNU-stack","",@progbits
	.addrsig
	.addrsig_sym __hip_cuid_316448d4b7e2b5e2
	.amdgpu_metadata
---
amdhsa.kernels:
  - .agpr_count:     0
    .args:
      - .actual_access:  read_only
        .address_space:  global
        .offset:         0
        .size:           8
        .value_kind:     global_buffer
      - .actual_access:  read_only
        .address_space:  global
        .offset:         8
        .size:           8
        .value_kind:     global_buffer
      - .actual_access:  write_only
        .address_space:  global
        .offset:         16
        .size:           8
        .value_kind:     global_buffer
      - .offset:         24
        .size:           4
        .value_kind:     by_value
      - .offset:         28
        .size:           4
        .value_kind:     by_value
      - .offset:         32
        .size:           4
        .value_kind:     by_value
    .group_segment_fixed_size: 0
    .kernarg_segment_align: 8
    .kernarg_segment_size: 36
    .language:       OpenCL C
    .language_version:
      - 2
      - 0
    .max_flat_workgroup_size: 1024
    .name:           _Z19permute_cols_kernelPK15HIP_vector_typeIiLj4EEPKiPS0_iii
    .private_segment_fixed_size: 0
    .sgpr_count:     35
    .sgpr_spill_count: 0
    .symbol:         _Z19permute_cols_kernelPK15HIP_vector_typeIiLj4EEPKiPS0_iii.kd
    .uniform_work_group_size: 1
    .uses_dynamic_stack: false
    .vgpr_count:     16
    .vgpr_spill_count: 0
    .wavefront_size: 64
amdhsa.target:   amdgcn-amd-amdhsa--gfx90a
amdhsa.version:
  - 1
  - 2
...

	.end_amdgpu_metadata
